;; amdgpu-corpus repo=ROCm/rocFFT kind=compiled arch=gfx906 opt=O3
	.text
	.amdgcn_target "amdgcn-amd-amdhsa--gfx906"
	.amdhsa_code_object_version 6
	.protected	fft_rtc_back_len1728_factors_3_6_6_16_wgs_108_tpt_108_halfLds_sp_op_CI_CI_sbrr_dirReg ; -- Begin function fft_rtc_back_len1728_factors_3_6_6_16_wgs_108_tpt_108_halfLds_sp_op_CI_CI_sbrr_dirReg
	.globl	fft_rtc_back_len1728_factors_3_6_6_16_wgs_108_tpt_108_halfLds_sp_op_CI_CI_sbrr_dirReg
	.p2align	8
	.type	fft_rtc_back_len1728_factors_3_6_6_16_wgs_108_tpt_108_halfLds_sp_op_CI_CI_sbrr_dirReg,@function
fft_rtc_back_len1728_factors_3_6_6_16_wgs_108_tpt_108_halfLds_sp_op_CI_CI_sbrr_dirReg: ; @fft_rtc_back_len1728_factors_3_6_6_16_wgs_108_tpt_108_halfLds_sp_op_CI_CI_sbrr_dirReg
; %bb.0:
	s_load_dwordx4 s[16:19], s[4:5], 0x18
	s_load_dwordx4 s[12:15], s[4:5], 0x0
	;; [unrolled: 1-line block ×3, first 2 shown]
	v_mul_u32_u24_e32 v1, 0x25f, v0
	v_mov_b32_e32 v5, 0
	s_waitcnt lgkmcnt(0)
	s_load_dwordx2 s[2:3], s[16:17], 0x0
	s_load_dwordx2 s[20:21], s[18:19], 0x0
	v_cmp_lt_u64_e64 s[0:1], s[14:15], 2
	v_mov_b32_e32 v17, 0
	v_add_u32_sdwa v7, s6, v1 dst_sel:DWORD dst_unused:UNUSED_PAD src0_sel:DWORD src1_sel:WORD_1
	v_mov_b32_e32 v8, v5
	s_and_b64 vcc, exec, s[0:1]
	v_mov_b32_e32 v18, 0
	s_cbranch_vccnz .LBB0_8
; %bb.1:
	s_load_dwordx2 s[0:1], s[4:5], 0x10
	s_add_u32 s6, s18, 8
	s_addc_u32 s7, s19, 0
	s_add_u32 s22, s16, 8
	s_addc_u32 s23, s17, 0
	v_mov_b32_e32 v17, 0
	s_waitcnt lgkmcnt(0)
	s_add_u32 s24, s0, 8
	v_mov_b32_e32 v18, 0
	v_mov_b32_e32 v1, v17
	s_addc_u32 s25, s1, 0
	s_mov_b64 s[26:27], 1
	v_mov_b32_e32 v2, v18
.LBB0_2:                                ; =>This Inner Loop Header: Depth=1
	s_load_dwordx2 s[28:29], s[24:25], 0x0
                                        ; implicit-def: $vgpr3_vgpr4
	s_waitcnt lgkmcnt(0)
	v_or_b32_e32 v6, s29, v8
	v_cmp_ne_u64_e32 vcc, 0, v[5:6]
	s_and_saveexec_b64 s[0:1], vcc
	s_xor_b64 s[30:31], exec, s[0:1]
	s_cbranch_execz .LBB0_4
; %bb.3:                                ;   in Loop: Header=BB0_2 Depth=1
	v_cvt_f32_u32_e32 v3, s28
	v_cvt_f32_u32_e32 v4, s29
	s_sub_u32 s0, 0, s28
	s_subb_u32 s1, 0, s29
	v_mac_f32_e32 v3, 0x4f800000, v4
	v_rcp_f32_e32 v3, v3
	v_mul_f32_e32 v3, 0x5f7ffffc, v3
	v_mul_f32_e32 v4, 0x2f800000, v3
	v_trunc_f32_e32 v4, v4
	v_mac_f32_e32 v3, 0xcf800000, v4
	v_cvt_u32_f32_e32 v4, v4
	v_cvt_u32_f32_e32 v3, v3
	v_mul_lo_u32 v6, s0, v4
	v_mul_hi_u32 v9, s0, v3
	v_mul_lo_u32 v11, s1, v3
	v_mul_lo_u32 v10, s0, v3
	v_add_u32_e32 v6, v9, v6
	v_add_u32_e32 v6, v6, v11
	v_mul_hi_u32 v9, v3, v10
	v_mul_lo_u32 v11, v3, v6
	v_mul_hi_u32 v13, v3, v6
	v_mul_hi_u32 v12, v4, v10
	v_mul_lo_u32 v10, v4, v10
	v_mul_hi_u32 v14, v4, v6
	v_add_co_u32_e32 v9, vcc, v9, v11
	v_addc_co_u32_e32 v11, vcc, 0, v13, vcc
	v_mul_lo_u32 v6, v4, v6
	v_add_co_u32_e32 v9, vcc, v9, v10
	v_addc_co_u32_e32 v9, vcc, v11, v12, vcc
	v_addc_co_u32_e32 v10, vcc, 0, v14, vcc
	v_add_co_u32_e32 v6, vcc, v9, v6
	v_addc_co_u32_e32 v9, vcc, 0, v10, vcc
	v_add_co_u32_e32 v3, vcc, v3, v6
	v_addc_co_u32_e32 v4, vcc, v4, v9, vcc
	v_mul_lo_u32 v6, s0, v4
	v_mul_hi_u32 v9, s0, v3
	v_mul_lo_u32 v10, s1, v3
	v_mul_lo_u32 v11, s0, v3
	v_add_u32_e32 v6, v9, v6
	v_add_u32_e32 v6, v6, v10
	v_mul_lo_u32 v12, v3, v6
	v_mul_hi_u32 v13, v3, v11
	v_mul_hi_u32 v14, v3, v6
	;; [unrolled: 1-line block ×3, first 2 shown]
	v_mul_lo_u32 v11, v4, v11
	v_mul_hi_u32 v9, v4, v6
	v_add_co_u32_e32 v12, vcc, v13, v12
	v_addc_co_u32_e32 v13, vcc, 0, v14, vcc
	v_mul_lo_u32 v6, v4, v6
	v_add_co_u32_e32 v11, vcc, v12, v11
	v_addc_co_u32_e32 v10, vcc, v13, v10, vcc
	v_addc_co_u32_e32 v9, vcc, 0, v9, vcc
	v_add_co_u32_e32 v6, vcc, v10, v6
	v_addc_co_u32_e32 v9, vcc, 0, v9, vcc
	v_add_co_u32_e32 v6, vcc, v3, v6
	v_addc_co_u32_e32 v9, vcc, v4, v9, vcc
	v_mad_u64_u32 v[3:4], s[0:1], v7, v9, 0
	v_mul_hi_u32 v10, v7, v6
	v_add_co_u32_e32 v11, vcc, v10, v3
	v_addc_co_u32_e32 v12, vcc, 0, v4, vcc
	v_mad_u64_u32 v[3:4], s[0:1], v8, v6, 0
	v_mad_u64_u32 v[9:10], s[0:1], v8, v9, 0
	v_add_co_u32_e32 v3, vcc, v11, v3
	v_addc_co_u32_e32 v3, vcc, v12, v4, vcc
	v_addc_co_u32_e32 v4, vcc, 0, v10, vcc
	v_add_co_u32_e32 v6, vcc, v3, v9
	v_addc_co_u32_e32 v9, vcc, 0, v4, vcc
	v_mul_lo_u32 v10, s29, v6
	v_mul_lo_u32 v11, s28, v9
	v_mad_u64_u32 v[3:4], s[0:1], s28, v6, 0
	v_add3_u32 v4, v4, v11, v10
	v_sub_u32_e32 v10, v8, v4
	v_mov_b32_e32 v11, s29
	v_sub_co_u32_e32 v3, vcc, v7, v3
	v_subb_co_u32_e64 v10, s[0:1], v10, v11, vcc
	v_subrev_co_u32_e64 v11, s[0:1], s28, v3
	v_subbrev_co_u32_e64 v10, s[0:1], 0, v10, s[0:1]
	v_cmp_le_u32_e64 s[0:1], s29, v10
	v_cndmask_b32_e64 v12, 0, -1, s[0:1]
	v_cmp_le_u32_e64 s[0:1], s28, v11
	v_cndmask_b32_e64 v11, 0, -1, s[0:1]
	v_cmp_eq_u32_e64 s[0:1], s29, v10
	v_cndmask_b32_e64 v10, v12, v11, s[0:1]
	v_add_co_u32_e64 v11, s[0:1], 2, v6
	v_addc_co_u32_e64 v12, s[0:1], 0, v9, s[0:1]
	v_add_co_u32_e64 v13, s[0:1], 1, v6
	v_addc_co_u32_e64 v14, s[0:1], 0, v9, s[0:1]
	v_subb_co_u32_e32 v4, vcc, v8, v4, vcc
	v_cmp_ne_u32_e64 s[0:1], 0, v10
	v_cmp_le_u32_e32 vcc, s29, v4
	v_cndmask_b32_e64 v10, v14, v12, s[0:1]
	v_cndmask_b32_e64 v12, 0, -1, vcc
	v_cmp_le_u32_e32 vcc, s28, v3
	v_cndmask_b32_e64 v3, 0, -1, vcc
	v_cmp_eq_u32_e32 vcc, s29, v4
	v_cndmask_b32_e32 v3, v12, v3, vcc
	v_cmp_ne_u32_e32 vcc, 0, v3
	v_cndmask_b32_e64 v3, v13, v11, s[0:1]
	v_cndmask_b32_e32 v4, v9, v10, vcc
	v_cndmask_b32_e32 v3, v6, v3, vcc
.LBB0_4:                                ;   in Loop: Header=BB0_2 Depth=1
	s_andn2_saveexec_b64 s[0:1], s[30:31]
	s_cbranch_execz .LBB0_6
; %bb.5:                                ;   in Loop: Header=BB0_2 Depth=1
	v_cvt_f32_u32_e32 v3, s28
	s_sub_i32 s30, 0, s28
	v_rcp_iflag_f32_e32 v3, v3
	v_mul_f32_e32 v3, 0x4f7ffffe, v3
	v_cvt_u32_f32_e32 v3, v3
	v_mul_lo_u32 v4, s30, v3
	v_mul_hi_u32 v4, v3, v4
	v_add_u32_e32 v3, v3, v4
	v_mul_hi_u32 v3, v7, v3
	v_mul_lo_u32 v4, v3, s28
	v_add_u32_e32 v6, 1, v3
	v_sub_u32_e32 v4, v7, v4
	v_subrev_u32_e32 v9, s28, v4
	v_cmp_le_u32_e32 vcc, s28, v4
	v_cndmask_b32_e32 v4, v4, v9, vcc
	v_cndmask_b32_e32 v3, v3, v6, vcc
	v_add_u32_e32 v6, 1, v3
	v_cmp_le_u32_e32 vcc, s28, v4
	v_cndmask_b32_e32 v3, v3, v6, vcc
	v_mov_b32_e32 v4, v5
.LBB0_6:                                ;   in Loop: Header=BB0_2 Depth=1
	s_or_b64 exec, exec, s[0:1]
	v_mul_lo_u32 v6, v4, s28
	v_mul_lo_u32 v11, v3, s29
	v_mad_u64_u32 v[9:10], s[0:1], v3, s28, 0
	s_load_dwordx2 s[0:1], s[22:23], 0x0
	s_load_dwordx2 s[28:29], s[6:7], 0x0
	v_add3_u32 v6, v10, v11, v6
	v_sub_co_u32_e32 v7, vcc, v7, v9
	v_subb_co_u32_e32 v6, vcc, v8, v6, vcc
	s_waitcnt lgkmcnt(0)
	v_mul_lo_u32 v8, s0, v6
	v_mul_lo_u32 v9, s1, v7
	v_mad_u64_u32 v[17:18], s[0:1], s0, v7, v[17:18]
	v_mul_lo_u32 v6, s28, v6
	v_mul_lo_u32 v10, s29, v7
	v_mad_u64_u32 v[1:2], s[0:1], s28, v7, v[1:2]
	s_add_u32 s26, s26, 1
	s_addc_u32 s27, s27, 0
	s_add_u32 s6, s6, 8
	v_add3_u32 v2, v10, v2, v6
	s_addc_u32 s7, s7, 0
	v_mov_b32_e32 v6, s14
	s_add_u32 s22, s22, 8
	v_mov_b32_e32 v7, s15
	s_addc_u32 s23, s23, 0
	v_cmp_ge_u64_e32 vcc, s[26:27], v[6:7]
	s_add_u32 s24, s24, 8
	v_add3_u32 v18, v9, v18, v8
	s_addc_u32 s25, s25, 0
	s_cbranch_vccnz .LBB0_9
; %bb.7:                                ;   in Loop: Header=BB0_2 Depth=1
	v_mov_b32_e32 v8, v4
	v_mov_b32_e32 v7, v3
	s_branch .LBB0_2
.LBB0_8:
	v_mov_b32_e32 v1, v17
	v_mov_b32_e32 v3, v7
	;; [unrolled: 1-line block ×4, first 2 shown]
.LBB0_9:
	s_load_dwordx2 s[0:1], s[4:5], 0x28
	s_lshl_b64 s[14:15], s[14:15], 3
	s_add_u32 s4, s18, s14
	s_addc_u32 s5, s19, s15
                                        ; implicit-def: $sgpr18
                                        ; implicit-def: $vgpr53
                                        ; implicit-def: $vgpr57
                                        ; implicit-def: $vgpr56
                                        ; implicit-def: $vgpr54
                                        ; implicit-def: $vgpr55
	s_waitcnt lgkmcnt(0)
	v_cmp_gt_u64_e32 vcc, s[0:1], v[3:4]
	v_cmp_le_u64_e64 s[0:1], s[0:1], v[3:4]
	s_and_saveexec_b64 s[6:7], s[0:1]
	s_xor_b64 s[0:1], exec, s[6:7]
; %bb.10:
	s_mov_b32 s6, 0x25ed098
	v_mul_hi_u32 v5, v0, s6
	s_mov_b32 s18, 0
                                        ; implicit-def: $vgpr17_vgpr18
	v_mul_u32_u24_e32 v5, 0x6c, v5
	v_sub_u32_e32 v53, v0, v5
	v_add_u32_e32 v57, 0x6c, v53
	v_add_u32_e32 v56, 0xd8, v53
	;; [unrolled: 1-line block ×4, first 2 shown]
                                        ; implicit-def: $vgpr0
; %bb.11:
	s_or_saveexec_b64 s[6:7], s[0:1]
	s_load_dwordx2 s[4:5], s[4:5], 0x0
	v_mov_b32_e32 v52, s18
                                        ; implicit-def: $vgpr10
                                        ; implicit-def: $vgpr35
                                        ; implicit-def: $vgpr37
                                        ; implicit-def: $vgpr12
                                        ; implicit-def: $vgpr31
                                        ; implicit-def: $vgpr33
                                        ; implicit-def: $vgpr14
                                        ; implicit-def: $vgpr27
                                        ; implicit-def: $vgpr29
                                        ; implicit-def: $vgpr16
                                        ; implicit-def: $vgpr21
                                        ; implicit-def: $vgpr25
                                        ; implicit-def: $vgpr6
                                        ; implicit-def: $vgpr19
                                        ; implicit-def: $vgpr23
                                        ; implicit-def: $vgpr41
                                        ; implicit-def: $vgpr39
                                        ; implicit-def: $vgpr8
	s_xor_b64 exec, exec, s[6:7]
	s_cbranch_execz .LBB0_15
; %bb.12:
	s_add_u32 s0, s16, s14
	s_mov_b32 s14, 0x25ed098
	v_mul_hi_u32 v5, v0, s14
	s_addc_u32 s1, s17, s15
	s_load_dwordx2 s[0:1], s[0:1], 0x0
	v_mul_u32_u24_e32 v5, 0x6c, v5
	v_sub_u32_e32 v53, v0, v5
	v_mad_u64_u32 v[5:6], s[14:15], s2, v53, 0
	s_waitcnt lgkmcnt(0)
	v_mul_lo_u32 v11, s1, v3
	v_mul_lo_u32 v12, s0, v4
	v_mad_u64_u32 v[7:8], s[0:1], s0, v3, 0
	v_mov_b32_e32 v0, v6
	v_mad_u64_u32 v[9:10], s[0:1], s3, v53, v[0:1]
	v_add3_u32 v8, v8, v12, v11
	v_lshlrev_b64 v[7:8], 3, v[7:8]
	v_mov_b32_e32 v0, s9
	v_add_co_u32_e64 v11, s[0:1], s8, v7
	v_add_u32_e32 v13, 0x240, v53
	v_mov_b32_e32 v6, v9
	v_addc_co_u32_e64 v12, s[0:1], v0, v8, s[0:1]
	v_mad_u64_u32 v[9:10], s[0:1], s2, v13, 0
	v_lshlrev_b64 v[7:8], 3, v[17:18]
	v_lshlrev_b64 v[5:6], 3, v[5:6]
	v_add_co_u32_e64 v0, s[0:1], v11, v7
	v_addc_co_u32_e64 v8, s[0:1], v12, v8, s[0:1]
	v_mov_b32_e32 v7, v10
	v_mad_u64_u32 v[10:11], s[0:1], s3, v13, v[7:8]
	v_or_b32_e32 v13, 0x480, v53
	v_mad_u64_u32 v[11:12], s[0:1], s2, v13, 0
	v_add_co_u32_e64 v38, s[0:1], v0, v5
	v_mov_b32_e32 v7, v12
	v_add_u32_e32 v57, 0x6c, v53
	v_addc_co_u32_e64 v39, s[0:1], v8, v6, s[0:1]
	v_lshlrev_b64 v[5:6], 3, v[9:10]
	v_mad_u64_u32 v[9:10], s[0:1], s3, v13, v[7:8]
	v_mad_u64_u32 v[13:14], s[0:1], s2, v57, 0
	v_add_co_u32_e64 v40, s[0:1], v0, v5
	v_mov_b32_e32 v12, v9
	v_mov_b32_e32 v7, v14
	v_addc_co_u32_e64 v41, s[0:1], v8, v6, s[0:1]
	v_lshlrev_b64 v[5:6], 3, v[11:12]
	v_mad_u64_u32 v[9:10], s[0:1], s3, v57, v[7:8]
	v_add_u32_e32 v12, 0x2ac, v53
	v_mad_u64_u32 v[10:11], s[0:1], s2, v12, 0
	v_add_co_u32_e64 v42, s[0:1], v0, v5
	v_mov_b32_e32 v7, v11
	v_addc_co_u32_e64 v43, s[0:1], v8, v6, s[0:1]
	v_mov_b32_e32 v14, v9
	v_mad_u64_u32 v[11:12], s[0:1], s3, v12, v[7:8]
	v_add_u32_e32 v9, 0x4ec, v53
	v_lshlrev_b64 v[5:6], 3, v[13:14]
	v_mad_u64_u32 v[12:13], s[0:1], s2, v9, 0
	v_add_co_u32_e64 v44, s[0:1], v0, v5
	v_mov_b32_e32 v7, v13
	v_addc_co_u32_e64 v45, s[0:1], v8, v6, s[0:1]
	v_lshlrev_b64 v[5:6], 3, v[10:11]
	v_mad_u64_u32 v[9:10], s[0:1], s3, v9, v[7:8]
	v_add_u32_e32 v56, 0xd8, v53
	v_mad_u64_u32 v[10:11], s[0:1], s2, v56, 0
	v_add_co_u32_e64 v46, s[0:1], v0, v5
	v_mov_b32_e32 v13, v9
	v_mov_b32_e32 v7, v11
	v_addc_co_u32_e64 v47, s[0:1], v8, v6, s[0:1]
	v_lshlrev_b64 v[5:6], 3, v[12:13]
	v_mad_u64_u32 v[11:12], s[0:1], s3, v56, v[7:8]
	v_add_u32_e32 v9, 0x318, v53
	v_mad_u64_u32 v[12:13], s[0:1], s2, v9, 0
	v_add_co_u32_e64 v48, s[0:1], v0, v5
	v_mov_b32_e32 v7, v13
	v_addc_co_u32_e64 v49, s[0:1], v8, v6, s[0:1]
	v_lshlrev_b64 v[5:6], 3, v[10:11]
	v_mad_u64_u32 v[9:10], s[0:1], s3, v9, v[7:8]
	v_add_u32_e32 v14, 0x558, v53
	v_mad_u64_u32 v[10:11], s[0:1], s2, v14, 0
	v_add_co_u32_e64 v50, s[0:1], v0, v5
	v_mov_b32_e32 v13, v9
	v_mov_b32_e32 v7, v11
	v_addc_co_u32_e64 v51, s[0:1], v8, v6, s[0:1]
	v_lshlrev_b64 v[5:6], 3, v[12:13]
	v_mad_u64_u32 v[11:12], s[0:1], s3, v14, v[7:8]
	v_add_u32_e32 v54, 0x144, v53
	;; [unrolled: 15-line block ×4, first 2 shown]
	v_mad_u64_u32 v[12:13], s[0:1], s2, v9, 0
	v_add_co_u32_e64 v66, s[0:1], v0, v5
	v_mov_b32_e32 v7, v13
	v_addc_co_u32_e64 v67, s[0:1], v8, v6, s[0:1]
	v_lshlrev_b64 v[5:6], 3, v[10:11]
	v_mad_u64_u32 v[9:10], s[0:1], s3, v9, v[7:8]
	v_add_u32_e32 v14, 0x630, v53
	v_mad_u64_u32 v[10:11], s[0:1], s2, v14, 0
	v_add_co_u32_e64 v68, s[0:1], v0, v5
	v_mov_b32_e32 v13, v9
	v_mov_b32_e32 v7, v11
	v_addc_co_u32_e64 v69, s[0:1], v8, v6, s[0:1]
	v_lshlrev_b64 v[5:6], 3, v[12:13]
	v_mad_u64_u32 v[11:12], s[0:1], s3, v14, v[7:8]
	v_add_co_u32_e64 v70, s[0:1], v0, v5
	v_addc_co_u32_e64 v71, s[0:1], v8, v6, s[0:1]
	v_lshlrev_b64 v[5:6], 3, v[10:11]
                                        ; implicit-def: $vgpr7
	v_add_co_u32_e64 v72, s[0:1], v0, v5
	v_addc_co_u32_e64 v73, s[0:1], v8, v6, s[0:1]
	global_load_dwordx2 v[9:10], v[38:39], off
	global_load_dwordx2 v[34:35], v[40:41], off
	;; [unrolled: 1-line block ×15, first 2 shown]
	v_cmp_gt_u32_e64 s[0:1], 36, v53
                                        ; implicit-def: $vgpr38
                                        ; implicit-def: $vgpr40
	s_and_saveexec_b64 s[8:9], s[0:1]
	s_cbranch_execz .LBB0_14
; %bb.13:
	v_add_u32_e32 v17, 0x21c, v53
	v_mad_u64_u32 v[38:39], s[0:1], s2, v17, 0
	v_add_u32_e32 v44, 0x45c, v53
	v_mad_u64_u32 v[40:41], s[0:1], s2, v44, 0
	v_mov_b32_e32 v7, v39
	v_mad_u64_u32 v[42:43], s[0:1], s3, v17, v[7:8]
	v_mov_b32_e32 v7, v41
	v_add_u32_e32 v17, 0x69c, v53
	v_mov_b32_e32 v39, v42
	v_mad_u64_u32 v[41:42], s[0:1], s3, v44, v[7:8]
	v_mad_u64_u32 v[42:43], s[0:1], s2, v17, 0
	v_lshlrev_b64 v[38:39], 3, v[38:39]
	v_add_co_u32_e64 v44, s[0:1], v0, v38
	v_mov_b32_e32 v7, v43
	v_addc_co_u32_e64 v45, s[0:1], v8, v39, s[0:1]
	v_lshlrev_b64 v[38:39], 3, v[40:41]
	v_mad_u64_u32 v[40:41], s[0:1], s3, v17, v[7:8]
	v_add_co_u32_e64 v46, s[0:1], v0, v38
	v_mov_b32_e32 v43, v40
	v_addc_co_u32_e64 v47, s[0:1], v8, v39, s[0:1]
	v_lshlrev_b64 v[38:39], 3, v[42:43]
	v_add_co_u32_e64 v42, s[0:1], v0, v38
	v_addc_co_u32_e64 v43, s[0:1], v8, v39, s[0:1]
	global_load_dwordx2 v[7:8], v[44:45], off
	global_load_dwordx2 v[38:39], v[46:47], off
	;; [unrolled: 1-line block ×3, first 2 shown]
.LBB0_14:
	s_or_b64 exec, exec, s[8:9]
	v_mov_b32_e32 v52, v53
.LBB0_15:
	s_or_b64 exec, exec, s[6:7]
	s_waitcnt vmcnt(12)
	v_add_f32_e32 v17, v34, v36
	v_add_f32_e32 v0, v9, v34
	v_fmac_f32_e32 v9, -0.5, v17
	v_sub_f32_e32 v17, v35, v37
	v_mov_b32_e32 v42, v9
	v_fmac_f32_e32 v42, 0xbf5db3d7, v17
	v_fmac_f32_e32 v9, 0x3f5db3d7, v17
	s_waitcnt vmcnt(10)
	v_add_f32_e32 v17, v11, v30
	s_waitcnt vmcnt(9)
	v_add_f32_e32 v43, v17, v32
	v_add_f32_e32 v17, v30, v32
	v_fmac_f32_e32 v11, -0.5, v17
	v_sub_f32_e32 v17, v31, v33
	v_mov_b32_e32 v44, v11
	v_fmac_f32_e32 v44, 0xbf5db3d7, v17
	v_fmac_f32_e32 v11, 0x3f5db3d7, v17
	s_waitcnt vmcnt(7)
	v_add_f32_e32 v17, v13, v26
	;; [unrolled: 10-line block ×4, first 2 shown]
	s_waitcnt vmcnt(0)
	v_add_f32_e32 v58, v17, v22
	v_add_f32_e32 v17, v18, v22
	v_fmac_f32_e32 v5, -0.5, v17
	v_sub_f32_e32 v17, v19, v23
	v_mov_b32_e32 v63, v5
	v_fmac_f32_e32 v63, 0xbf5db3d7, v17
	v_fmac_f32_e32 v5, 0x3f5db3d7, v17
	v_add_f32_e32 v17, v38, v7
	v_add_f32_e32 v62, v40, v17
	;; [unrolled: 1-line block ×3, first 2 shown]
	v_fmac_f32_e32 v7, -0.5, v17
	v_sub_f32_e32 v17, v39, v41
	v_mov_b32_e32 v61, v7
	v_add_f32_e32 v0, v0, v36
	v_fmac_f32_e32 v61, 0xbf5db3d7, v17
	v_fmac_f32_e32 v7, 0x3f5db3d7, v17
	v_mad_u32_u24 v17, v53, 12, 0
	ds_write2_b32 v17, v0, v42 offset1:1
	ds_write_b32 v17, v9 offset:8
	v_mad_i32_i24 v65, v57, 12, 0
	v_mad_i32_i24 v64, v56, 12, 0
	;; [unrolled: 1-line block ×3, first 2 shown]
	ds_write2_b32 v65, v43, v44 offset1:1
	ds_write_b32 v65, v11 offset:8
	ds_write2_b32 v64, v45, v46 offset1:1
	ds_write_b32 v64, v13 offset:8
	;; [unrolled: 2-line block ×3, first 2 shown]
	v_mad_i32_i24 v0, v55, 12, 0
	v_cmp_gt_u32_e64 s[2:3], 36, v53
	ds_write2_b32 v0, v58, v63 offset1:1
	ds_write_b32 v0, v5 offset:8
	s_and_saveexec_b64 s[0:1], s[2:3]
	s_cbranch_execz .LBB0_17
; %bb.16:
	v_add_u32_e32 v0, 0x1950, v17
	ds_write2_b32 v0, v62, v61 offset1:1
	ds_write_b32 v17, v7 offset:6488
.LBB0_17:
	s_or_b64 exec, exec, s[0:1]
	v_lshlrev_b32_e32 v0, 3, v53
	v_sub_u32_e32 v0, v17, v0
	v_add_u32_e32 v11, 0x400, v0
	s_waitcnt lgkmcnt(0)
	s_barrier
	ds_read2_b32 v[50:51], v11 offset0:32 offset1:140
	v_add_u32_e32 v11, 0x800, v0
	ds_read2_b32 v[48:49], v11 offset0:64 offset1:172
	v_add_u32_e32 v11, 0xc00, v0
	;; [unrolled: 2-line block ×4, first 2 shown]
	v_lshlrev_b32_e32 v13, 3, v57
	ds_read2_b32 v[42:43], v11 offset0:32 offset1:140
	v_sub_u32_e32 v11, v65, v13
	ds_read_b32 v60, v0
	ds_read_b32 v59, v11
	s_movk_i32 s0, 0x48
	v_mul_i32_i24_e32 v9, 12, v54
	v_mul_i32_i24_e32 v11, 12, v55
	v_cmp_gt_u32_e64 s[0:1], s0, v53
	v_lshlrev_b32_e32 v66, 3, v56
	s_and_saveexec_b64 s[6:7], s[0:1]
	s_cbranch_execz .LBB0_19
; %bb.18:
	v_sub_u32_e32 v7, v64, v66
	ds_read_b32 v63, v0 offset:2016
	ds_read_b32 v5, v0 offset:3168
	ds_read_b32 v62, v0 offset:4320
	ds_read_b32 v61, v0 offset:5472
	ds_read_b32 v58, v7
	ds_read_b32 v7, v0 offset:6624
.LBB0_19:
	s_or_b64 exec, exec, s[6:7]
	v_add_f32_e32 v15, v35, v37
	v_sub_u32_e32 v67, 0, v13
	v_add_f32_e32 v13, v10, v35
	v_fmac_f32_e32 v10, -0.5, v15
	v_sub_f32_e32 v15, v34, v36
	v_mov_b32_e32 v34, v10
	v_fmac_f32_e32 v34, 0x3f5db3d7, v15
	v_fmac_f32_e32 v10, 0xbf5db3d7, v15
	v_add_f32_e32 v15, v12, v31
	v_add_f32_e32 v31, v31, v33
	v_fmac_f32_e32 v12, -0.5, v31
	v_sub_f32_e32 v30, v30, v32
	v_mov_b32_e32 v31, v12
	v_fmac_f32_e32 v31, 0x3f5db3d7, v30
	v_fmac_f32_e32 v12, 0xbf5db3d7, v30
	v_add_f32_e32 v30, v14, v27
	v_add_f32_e32 v27, v27, v29
	v_fmac_f32_e32 v14, -0.5, v27
	v_sub_f32_e32 v26, v26, v28
	v_mov_b32_e32 v28, v14
	v_fmac_f32_e32 v28, 0x3f5db3d7, v26
	v_fmac_f32_e32 v14, 0xbf5db3d7, v26
	v_add_f32_e32 v26, v16, v21
	v_add_f32_e32 v21, v21, v25
	v_fmac_f32_e32 v16, -0.5, v21
	v_sub_f32_e32 v20, v20, v24
	v_mov_b32_e32 v21, v16
	v_fmac_f32_e32 v21, 0x3f5db3d7, v20
	v_fmac_f32_e32 v16, 0xbf5db3d7, v20
	v_add_f32_e32 v20, v6, v19
	v_add_f32_e32 v19, v19, v23
	v_fmac_f32_e32 v6, -0.5, v19
	v_add_f32_e32 v30, v30, v29
	v_sub_f32_e32 v18, v18, v22
	v_mov_b32_e32 v29, v6
	v_fmac_f32_e32 v29, 0x3f5db3d7, v18
	v_fmac_f32_e32 v6, 0xbf5db3d7, v18
	v_add_f32_e32 v18, v39, v8
	v_add_f32_e32 v27, v41, v18
	;; [unrolled: 1-line block ×3, first 2 shown]
	v_fmac_f32_e32 v8, -0.5, v18
	v_add_f32_e32 v13, v13, v37
	v_add_f32_e32 v32, v26, v25
	v_sub_f32_e32 v18, v38, v40
	v_mov_b32_e32 v26, v8
	v_add_u32_e32 v9, 0, v9
	v_add_f32_e32 v15, v15, v33
	v_add_f32_e32 v20, v20, v23
	v_fmac_f32_e32 v26, 0x3f5db3d7, v18
	v_fmac_f32_e32 v8, 0xbf5db3d7, v18
	s_waitcnt lgkmcnt(0)
	s_barrier
	ds_write2_b32 v17, v13, v34 offset1:1
	ds_write_b32 v17, v10 offset:8
	ds_write2_b32 v65, v15, v31 offset1:1
	ds_write_b32 v65, v12 offset:8
	;; [unrolled: 2-line block ×4, first 2 shown]
	v_add_u32_e32 v9, 0, v11
	ds_write2_b32 v9, v20, v29 offset1:1
	ds_write_b32 v9, v6 offset:8
	s_and_saveexec_b64 s[6:7], s[2:3]
	s_cbranch_execz .LBB0_21
; %bb.20:
	v_add_u32_e32 v9, 0x21c, v53
	v_mad_u32_u24 v9, v9, 12, 0
	ds_write2_b32 v9, v27, v26 offset1:1
	ds_write_b32 v9, v8 offset:8
.LBB0_21:
	s_or_b64 exec, exec, s[6:7]
	v_add_u32_e32 v9, 0x400, v0
	s_waitcnt lgkmcnt(0)
	s_barrier
	ds_read2_b32 v[17:18], v9 offset0:32 offset1:140
	v_add_u32_e32 v9, 0x800, v0
	ds_read2_b32 v[15:16], v9 offset0:64 offset1:172
	v_add_u32_e32 v9, 0xc00, v0
	;; [unrolled: 2-line block ×5, first 2 shown]
	ds_read_b32 v21, v0
	ds_read_b32 v19, v25
	s_and_saveexec_b64 s[2:3], s[0:1]
	s_cbranch_execz .LBB0_23
; %bb.22:
	v_sub_u32_e32 v8, v64, v66
	ds_read_b32 v29, v0 offset:2016
	ds_read_b32 v6, v0 offset:3168
	;; [unrolled: 1-line block ×4, first 2 shown]
	ds_read_b32 v20, v8
	ds_read_b32 v8, v0 offset:6624
.LBB0_23:
	s_or_b64 exec, exec, s[2:3]
	s_movk_i32 s2, 0xab
	v_mul_lo_u16_sdwa v22, v53, s2 dst_sel:DWORD dst_unused:UNUSED_PAD src0_sel:BYTE_0 src1_sel:DWORD
	v_lshrrev_b16_e32 v68, 9, v22
	v_mul_lo_u16_e32 v22, 3, v68
	v_sub_u16_e32 v69, v53, v22
	v_mov_b32_e32 v40, 5
	v_mul_u32_u24_sdwa v22, v69, v40 dst_sel:DWORD dst_unused:UNUSED_PAD src0_sel:BYTE_0 src1_sel:DWORD
	v_lshlrev_b32_e32 v22, 3, v22
	global_load_dwordx2 v[38:39], v22, s[12:13] offset:32
	global_load_dwordx4 v[30:33], v22, s[12:13] offset:16
	global_load_dwordx4 v[34:37], v22, s[12:13]
	s_waitcnt vmcnt(1) lgkmcnt(3)
	v_mul_f32_e32 v28, v11, v33
	s_waitcnt vmcnt(0)
	v_mul_f32_e32 v23, v50, v35
	v_mul_f32_e32 v24, v48, v37
	v_mul_f32_e32 v22, v17, v35
	v_fma_f32 v17, v17, v34, -v23
	v_mul_f32_e32 v23, v15, v37
	v_fma_f32 v24, v15, v36, -v24
	v_mul_f32_e32 v15, v46, v31
	v_mul_f32_e32 v37, v13, v31
	v_fma_f32 v15, v13, v30, -v15
	v_mul_f32_e32 v13, v44, v33
	v_fmac_f32_e32 v28, v44, v32
	v_fma_f32 v32, v11, v32, -v13
	v_mul_f32_e32 v11, v42, v39
	v_fmac_f32_e32 v37, v46, v30
	s_waitcnt lgkmcnt(2)
	v_mul_f32_e32 v31, v9, v39
	v_fma_f32 v30, v9, v38, -v11
	v_mul_lo_u16_sdwa v9, v57, s2 dst_sel:DWORD dst_unused:UNUSED_PAD src0_sel:BYTE_0 src1_sel:DWORD
	v_lshrrev_b16_e32 v70, 9, v9
	v_mul_lo_u16_e32 v9, 3, v70
	v_sub_u16_e32 v71, v57, v9
	v_mul_u32_u24_sdwa v9, v71, v40 dst_sel:DWORD dst_unused:UNUSED_PAD src0_sel:BYTE_0 src1_sel:DWORD
	v_lshlrev_b32_e32 v9, 3, v9
	v_fmac_f32_e32 v22, v50, v34
	v_fmac_f32_e32 v23, v48, v36
	;; [unrolled: 1-line block ×3, first 2 shown]
	global_load_dwordx2 v[64:65], v9, s[12:13] offset:32
	global_load_dwordx4 v[33:36], v9, s[12:13] offset:16
	global_load_dwordx4 v[39:42], v9, s[12:13]
	s_mov_b32 s2, 0xaaab
	s_waitcnt vmcnt(2)
	v_mul_f32_e32 v67, v10, v65
	s_waitcnt vmcnt(1)
	v_mul_f32_e32 v66, v14, v34
	;; [unrolled: 2-line block ×3, first 2 shown]
	v_mul_f32_e32 v38, v18, v40
	v_fma_f32 v18, v18, v39, -v9
	v_mul_f32_e32 v9, v49, v42
	v_fma_f32 v40, v16, v41, -v9
	v_mul_f32_e32 v9, v47, v34
	v_fmac_f32_e32 v38, v51, v39
	v_mul_f32_e32 v39, v16, v42
	v_fma_f32 v16, v14, v33, -v9
	v_mul_f32_e32 v9, v45, v36
	v_fma_f32 v44, v12, v35, -v9
	;; [unrolled: 2-line block ×3, first 2 shown]
	v_mul_u32_u24_sdwa v9, v56, s2 dst_sel:DWORD dst_unused:UNUSED_PAD src0_sel:WORD_0 src1_sel:DWORD
	v_lshrrev_b32_e32 v72, 17, v9
	v_mul_lo_u16_e32 v9, 3, v72
	v_sub_u16_e32 v73, v56, v9
	v_mul_u32_u24_e32 v9, 5, v73
	v_fmac_f32_e32 v39, v49, v41
	v_mul_f32_e32 v41, v12, v36
	v_fmac_f32_e32 v67, v43, v64
	v_lshlrev_b32_e32 v43, 3, v9
	v_fmac_f32_e32 v66, v47, v33
	v_fmac_f32_e32 v41, v45, v35
	global_load_dwordx2 v[13:14], v43, s[12:13] offset:32
	global_load_dwordx4 v[9:12], v43, s[12:13] offset:16
	global_load_dwordx4 v[33:36], v43, s[12:13]
	s_waitcnt vmcnt(0) lgkmcnt(0)
	s_barrier
	v_mul_f32_e32 v49, v26, v12
	v_mul_f32_e32 v46, v6, v36
	v_fmac_f32_e32 v46, v5, v35
	v_mul_f32_e32 v5, v5, v36
	v_fma_f32 v47, v6, v35, -v5
	v_mul_f32_e32 v6, v62, v10
	v_fma_f32 v48, v27, v9, -v6
	;; [unrolled: 2-line block ×3, first 2 shown]
	v_mul_f32_e32 v6, v8, v14
	v_fmac_f32_e32 v6, v7, v13
	v_mul_f32_e32 v7, v7, v14
	v_fma_f32 v51, v8, v13, -v7
	v_add_f32_e32 v8, v23, v28
	v_mul_f32_e32 v5, v27, v10
	v_add_f32_e32 v7, v60, v23
	v_fmac_f32_e32 v60, -0.5, v8
	v_fmac_f32_e32 v5, v62, v9
	v_sub_f32_e32 v8, v24, v32
	v_mov_b32_e32 v9, v60
	v_add_f32_e32 v10, v37, v31
	v_fmac_f32_e32 v9, 0xbf5db3d7, v8
	v_fmac_f32_e32 v60, 0x3f5db3d7, v8
	v_add_f32_e32 v8, v22, v37
	v_fmac_f32_e32 v22, -0.5, v10
	v_fmac_f32_e32 v49, v61, v11
	v_sub_f32_e32 v10, v15, v30
	v_mov_b32_e32 v61, v22
	v_fmac_f32_e32 v61, 0xbf5db3d7, v10
	v_fmac_f32_e32 v22, 0x3f5db3d7, v10
	v_add_f32_e32 v10, v15, v30
	v_mul_f32_e32 v43, v29, v34
	v_fma_f32 v62, -0.5, v10, v17
	v_fmac_f32_e32 v43, v63, v33
	v_mul_f32_e32 v34, v63, v34
	v_sub_f32_e32 v10, v37, v31
	v_mov_b32_e32 v63, v62
	v_fmac_f32_e32 v63, 0x3f5db3d7, v10
	v_fmac_f32_e32 v62, 0xbf5db3d7, v10
	v_mul_f32_e32 v11, 0xbf5db3d7, v63
	v_mul_f32_e32 v13, 0xbf5db3d7, v62
	v_add_f32_e32 v7, v7, v28
	v_add_f32_e32 v8, v8, v31
	v_fmac_f32_e32 v11, 0.5, v61
	v_fmac_f32_e32 v13, -0.5, v22
	v_add_f32_e32 v10, v7, v8
	v_add_f32_e32 v12, v9, v11
	;; [unrolled: 1-line block ×3, first 2 shown]
	v_sub_f32_e32 v7, v7, v8
	v_sub_f32_e32 v8, v9, v11
	;; [unrolled: 1-line block ×3, first 2 shown]
	v_add_f32_e32 v13, v39, v41
	v_add_f32_e32 v11, v59, v39
	v_fmac_f32_e32 v59, -0.5, v13
	v_sub_f32_e32 v13, v40, v44
	v_mov_b32_e32 v26, v59
	v_add_f32_e32 v27, v66, v67
	v_fmac_f32_e32 v26, 0xbf5db3d7, v13
	v_fmac_f32_e32 v59, 0x3f5db3d7, v13
	v_add_f32_e32 v13, v38, v66
	v_fmac_f32_e32 v38, -0.5, v27
	v_sub_f32_e32 v27, v16, v42
	v_mov_b32_e32 v60, v38
	v_fmac_f32_e32 v60, 0xbf5db3d7, v27
	v_fmac_f32_e32 v38, 0x3f5db3d7, v27
	v_add_f32_e32 v27, v16, v42
	v_fma_f32 v64, -0.5, v27, v18
	v_sub_f32_e32 v27, v66, v67
	v_mov_b32_e32 v65, v64
	v_fmac_f32_e32 v65, 0x3f5db3d7, v27
	v_fmac_f32_e32 v64, 0xbf5db3d7, v27
	v_mul_f32_e32 v27, 0xbf5db3d7, v65
	v_fma_f32 v45, v29, v33, -v34
	v_add_f32_e32 v11, v11, v41
	v_add_f32_e32 v13, v13, v67
	v_fmac_f32_e32 v27, 0.5, v60
	v_mul_f32_e32 v33, 0xbf5db3d7, v64
	v_add_f32_e32 v29, v11, v13
	v_add_f32_e32 v31, v26, v27
	v_fmac_f32_e32 v33, -0.5, v38
	v_sub_f32_e32 v11, v11, v13
	v_sub_f32_e32 v13, v26, v27
	v_add_f32_e32 v27, v58, v46
	v_add_f32_e32 v74, v59, v33
	v_sub_f32_e32 v26, v59, v33
	v_add_f32_e32 v33, v27, v49
	v_add_f32_e32 v27, v46, v49
	v_fmac_f32_e32 v58, -0.5, v27
	v_sub_f32_e32 v27, v47, v50
	v_mov_b32_e32 v34, v58
	v_fmac_f32_e32 v34, 0xbf5db3d7, v27
	v_fmac_f32_e32 v58, 0x3f5db3d7, v27
	v_add_f32_e32 v27, v43, v5
	v_add_f32_e32 v35, v27, v6
	;; [unrolled: 1-line block ×3, first 2 shown]
	v_fmac_f32_e32 v43, -0.5, v27
	v_sub_f32_e32 v27, v48, v51
	v_mov_b32_e32 v59, v43
	v_fmac_f32_e32 v59, 0xbf5db3d7, v27
	v_fmac_f32_e32 v43, 0x3f5db3d7, v27
	v_add_f32_e32 v27, v48, v51
	v_fma_f32 v66, -0.5, v27, v45
	v_sub_f32_e32 v5, v5, v6
	v_mov_b32_e32 v67, v66
	v_fmac_f32_e32 v66, 0xbf5db3d7, v5
	v_fmac_f32_e32 v67, 0x3f5db3d7, v5
	v_mul_f32_e32 v6, 0xbf5db3d7, v66
	v_mul_f32_e32 v5, 0xbf5db3d7, v67
	v_fmac_f32_e32 v6, -0.5, v43
	v_add_f32_e32 v27, v33, v35
	v_fmac_f32_e32 v5, 0.5, v59
	v_add_f32_e32 v36, v58, v6
	v_sub_f32_e32 v35, v33, v35
	v_sub_f32_e32 v33, v58, v6
	v_mov_b32_e32 v6, 2
	v_add_f32_e32 v37, v34, v5
	v_sub_f32_e32 v34, v34, v5
	v_mul_u32_u24_e32 v5, 0x48, v68
	v_lshlrev_b32_sdwa v58, v6, v69 dst_sel:DWORD dst_unused:UNUSED_PAD src0_sel:DWORD src1_sel:BYTE_0
	v_add3_u32 v58, 0, v5, v58
	v_mul_u32_u24_e32 v5, 0x48, v70
	v_lshlrev_b32_sdwa v6, v6, v71 dst_sel:DWORD dst_unused:UNUSED_PAD src0_sel:DWORD src1_sel:BYTE_0
	v_add3_u32 v70, 0, v5, v6
	v_mul_lo_u16_e32 v68, 18, v72
	v_lshlrev_b32_e32 v69, 2, v73
	ds_write2_b32 v58, v10, v12 offset1:3
	ds_write2_b32 v58, v14, v7 offset0:6 offset1:9
	ds_write2_b32 v58, v8, v9 offset0:12 offset1:15
	ds_write2_b32 v70, v29, v31 offset1:3
	ds_write2_b32 v70, v74, v11 offset0:6 offset1:9
	ds_write2_b32 v70, v13, v26 offset0:12 offset1:15
	s_and_saveexec_b64 s[2:3], s[0:1]
	s_cbranch_execz .LBB0_25
; %bb.24:
	v_lshlrev_b32_e32 v5, 2, v68
	v_add3_u32 v5, 0, v69, v5
	ds_write2_b32 v5, v27, v37 offset1:3
	ds_write2_b32 v5, v36, v35 offset0:6 offset1:9
	ds_write2_b32 v5, v34, v33 offset0:12 offset1:15
.LBB0_25:
	s_or_b64 exec, exec, s[2:3]
	v_add_u32_e32 v5, 0x400, v0
	s_waitcnt lgkmcnt(0)
	s_barrier
	ds_read2_b32 v[13:14], v5 offset0:32 offset1:140
	v_add_u32_e32 v5, 0x800, v0
	ds_read2_b32 v[11:12], v5 offset0:64 offset1:172
	v_add_u32_e32 v5, 0xc00, v0
	;; [unrolled: 2-line block ×4, first 2 shown]
	ds_read2_b32 v[5:6], v5 offset0:32 offset1:140
	ds_read_b32 v31, v0
	ds_read_b32 v29, v25
	v_lshl_add_u32 v26, v56, 2, 0
	s_and_saveexec_b64 s[2:3], s[0:1]
	s_cbranch_execz .LBB0_27
; %bb.26:
	ds_read_b32 v37, v0 offset:2016
	ds_read_b32 v36, v0 offset:3168
	;; [unrolled: 1-line block ×4, first 2 shown]
	ds_read_b32 v27, v26
	ds_read_b32 v33, v0 offset:6624
.LBB0_27:
	s_or_b64 exec, exec, s[2:3]
	v_add_f32_e32 v71, v21, v24
	v_add_f32_e32 v24, v24, v32
	v_fmac_f32_e32 v21, -0.5, v24
	v_sub_f32_e32 v23, v23, v28
	v_mov_b32_e32 v24, v21
	v_mul_f32_e32 v28, -0.5, v62
	v_fmac_f32_e32 v24, 0x3f5db3d7, v23
	v_fmac_f32_e32 v21, 0xbf5db3d7, v23
	v_mul_f32_e32 v23, 0.5, v63
	v_fmac_f32_e32 v28, 0x3f5db3d7, v22
	v_add_f32_e32 v15, v17, v15
	v_fmac_f32_e32 v23, 0x3f5db3d7, v61
	v_add_f32_e32 v22, v21, v28
	v_sub_f32_e32 v21, v21, v28
	v_add_f32_e32 v28, v40, v44
	v_add_f32_e32 v15, v15, v30
	;; [unrolled: 1-line block ×3, first 2 shown]
	v_sub_f32_e32 v23, v24, v23
	v_add_f32_e32 v24, v19, v40
	v_fmac_f32_e32 v19, -0.5, v28
	v_add_f32_e32 v71, v71, v32
	v_sub_f32_e32 v28, v39, v41
	v_mov_b32_e32 v32, v19
	v_fmac_f32_e32 v32, 0x3f5db3d7, v28
	v_fmac_f32_e32 v19, 0xbf5db3d7, v28
	v_add_f32_e32 v16, v18, v16
	v_mul_f32_e32 v28, 0.5, v65
	v_add_f32_e32 v24, v24, v44
	v_add_f32_e32 v16, v16, v42
	v_fmac_f32_e32 v28, 0x3f5db3d7, v60
	v_add_f32_e32 v18, v24, v16
	v_add_f32_e32 v60, v32, v28
	v_sub_f32_e32 v16, v24, v16
	v_sub_f32_e32 v24, v32, v28
	v_add_f32_e32 v28, v20, v47
	v_mul_f32_e32 v39, -0.5, v64
	v_add_f32_e32 v32, v28, v50
	v_add_f32_e32 v28, v47, v50
	v_fmac_f32_e32 v39, 0x3f5db3d7, v38
	v_fmac_f32_e32 v20, -0.5, v28
	v_add_f32_e32 v38, v19, v39
	v_sub_f32_e32 v19, v19, v39
	v_sub_f32_e32 v28, v46, v49
	v_mov_b32_e32 v39, v20
	v_fmac_f32_e32 v39, 0x3f5db3d7, v28
	v_fmac_f32_e32 v20, 0xbf5db3d7, v28
	v_add_f32_e32 v28, v45, v48
	v_mul_f32_e32 v45, 0.5, v67
	v_mul_f32_e32 v46, -0.5, v66
	v_add_f32_e32 v40, v28, v51
	v_fmac_f32_e32 v45, 0x3f5db3d7, v59
	v_fmac_f32_e32 v46, 0x3f5db3d7, v43
	v_add_f32_e32 v17, v71, v15
	v_add_f32_e32 v28, v32, v40
	v_add_f32_e32 v44, v39, v45
	v_add_f32_e32 v42, v20, v46
	v_sub_f32_e32 v41, v32, v40
	v_sub_f32_e32 v40, v39, v45
	;; [unrolled: 1-line block ×4, first 2 shown]
	s_waitcnt lgkmcnt(0)
	s_barrier
	ds_write2_b32 v58, v17, v30 offset1:3
	ds_write2_b32 v58, v22, v15 offset0:6 offset1:9
	ds_write2_b32 v58, v23, v21 offset0:12 offset1:15
	ds_write2_b32 v70, v18, v60 offset1:3
	ds_write2_b32 v70, v38, v16 offset0:6 offset1:9
	ds_write2_b32 v70, v24, v19 offset0:12 offset1:15
	s_and_saveexec_b64 s[2:3], s[0:1]
	s_cbranch_execz .LBB0_29
; %bb.28:
	v_lshlrev_b32_e32 v15, 2, v68
	v_add3_u32 v15, 0, v69, v15
	ds_write2_b32 v15, v28, v44 offset1:3
	ds_write2_b32 v15, v42, v41 offset0:6 offset1:9
	ds_write2_b32 v15, v40, v39 offset0:12 offset1:15
.LBB0_29:
	s_or_b64 exec, exec, s[2:3]
	v_add_u32_e32 v15, 0x400, v0
	s_waitcnt lgkmcnt(0)
	s_barrier
	ds_read2_b32 v[23:24], v15 offset0:32 offset1:140
	v_add_u32_e32 v15, 0x800, v0
	ds_read2_b32 v[21:22], v15 offset0:64 offset1:172
	v_add_u32_e32 v15, 0xc00, v0
	;; [unrolled: 2-line block ×4, first 2 shown]
	ds_read2_b32 v[15:16], v15 offset0:32 offset1:140
	ds_read_b32 v32, v0
	ds_read_b32 v30, v25
	s_and_saveexec_b64 s[2:3], s[0:1]
	s_cbranch_execz .LBB0_31
; %bb.30:
	ds_read_b32 v44, v0 offset:2016
	ds_read_b32 v42, v0 offset:3168
	;; [unrolled: 1-line block ×4, first 2 shown]
	ds_read_b32 v28, v26
	ds_read_b32 v39, v0 offset:6624
.LBB0_31:
	s_or_b64 exec, exec, s[2:3]
	v_mov_b32_e32 v43, 57
	v_mul_lo_u16_sdwa v38, v53, v43 dst_sel:DWORD dst_unused:UNUSED_PAD src0_sel:BYTE_0 src1_sel:DWORD
	v_lshrrev_b16_e32 v62, 10, v38
	v_mul_lo_u16_e32 v38, 18, v62
	v_sub_u16_e32 v63, v53, v38
	v_mov_b32_e32 v51, 5
	v_mul_u32_u24_sdwa v38, v63, v51 dst_sel:DWORD dst_unused:UNUSED_PAD src0_sel:BYTE_0 src1_sel:DWORD
	v_lshlrev_b32_e32 v38, 3, v38
	global_load_dwordx2 v[49:50], v38, s[12:13] offset:152
	global_load_dwordx4 v[45:48], v38, s[12:13] offset:136
	global_load_dwordx4 v[58:61], v38, s[12:13] offset:120
	s_mov_b32 s2, 0xe38f
	s_waitcnt vmcnt(2) lgkmcnt(2)
	v_mul_f32_e32 v64, v15, v50
	v_fmac_f32_e32 v64, v5, v49
	s_waitcnt vmcnt(0)
	v_mul_f32_e32 v38, v23, v59
	v_mul_f32_e32 v5, v5, v50
	v_fmac_f32_e32 v38, v13, v58
	v_mul_f32_e32 v13, v13, v59
	v_fma_f32 v5, v15, v49, -v5
	v_mul_lo_u16_sdwa v15, v57, v43 dst_sel:DWORD dst_unused:UNUSED_PAD src0_sel:BYTE_0 src1_sel:DWORD
	v_fma_f32 v13, v23, v58, -v13
	v_mul_f32_e32 v23, v21, v61
	v_lshrrev_b16_e32 v65, 10, v15
	v_fmac_f32_e32 v23, v11, v60
	v_mul_f32_e32 v11, v11, v61
	v_mul_f32_e32 v61, v19, v46
	v_mul_lo_u16_e32 v15, 18, v65
	v_fmac_f32_e32 v61, v9, v45
	v_mul_f32_e32 v9, v9, v46
	v_sub_u16_e32 v66, v57, v15
	v_fma_f32 v9, v19, v45, -v9
	v_mul_f32_e32 v19, v17, v48
	v_mul_u32_u24_sdwa v15, v66, v51 dst_sel:DWORD dst_unused:UNUSED_PAD src0_sel:BYTE_0 src1_sel:DWORD
	v_fmac_f32_e32 v19, v7, v47
	v_mul_f32_e32 v7, v7, v48
	v_lshlrev_b32_e32 v15, 3, v15
	v_fma_f32 v11, v21, v60, -v11
	v_fma_f32 v7, v17, v47, -v7
	global_load_dwordx2 v[49:50], v15, s[12:13] offset:152
	global_load_dwordx4 v[45:48], v15, s[12:13] offset:136
	global_load_dwordx4 v[57:60], v15, s[12:13] offset:120
	s_waitcnt vmcnt(1)
	v_mul_f32_e32 v51, v20, v46
	s_waitcnt vmcnt(0)
	v_mul_f32_e32 v17, v22, v60
	v_fmac_f32_e32 v17, v12, v59
	v_mul_f32_e32 v12, v12, v60
	v_mul_f32_e32 v60, v16, v50
	v_fmac_f32_e32 v51, v10, v45
	v_mul_f32_e32 v10, v10, v46
	v_fmac_f32_e32 v60, v6, v49
	v_mul_f32_e32 v6, v6, v50
	v_fma_f32 v10, v20, v45, -v10
	v_mul_f32_e32 v20, v18, v48
	v_fma_f32 v6, v16, v49, -v6
	v_mul_u32_u24_sdwa v16, v56, s2 dst_sel:DWORD dst_unused:UNUSED_PAD src0_sel:WORD_0 src1_sel:DWORD
	v_fmac_f32_e32 v20, v8, v47
	v_mul_f32_e32 v8, v8, v48
	v_lshrrev_b32_e32 v16, 20, v16
	v_fma_f32 v8, v18, v47, -v8
	v_mul_lo_u16_e32 v18, 18, v16
	v_sub_u16_e32 v67, v56, v18
	v_mul_f32_e32 v15, v24, v58
	v_mul_u32_u24_e32 v18, 5, v67
	v_fmac_f32_e32 v15, v14, v57
	v_mul_f32_e32 v14, v14, v58
	v_lshlrev_b32_e32 v18, 3, v18
	v_fma_f32 v14, v24, v57, -v14
	v_fma_f32 v12, v22, v59, -v12
	global_load_dwordx2 v[49:50], v18, s[12:13] offset:152
	global_load_dwordx4 v[45:48], v18, s[12:13] offset:136
	global_load_dwordx4 v[56:59], v18, s[12:13] offset:120
	s_waitcnt vmcnt(0) lgkmcnt(0)
	s_barrier
	v_mul_f32_e32 v24, v35, v46
	v_mul_f32_e32 v21, v42, v59
	v_fmac_f32_e32 v21, v36, v58
	v_mul_f32_e32 v22, v36, v59
	v_mul_f32_e32 v36, v41, v46
	;; [unrolled: 1-line block ×3, first 2 shown]
	v_fmac_f32_e32 v36, v35, v45
	v_mul_f32_e32 v35, v40, v48
	v_fmac_f32_e32 v43, v37, v56
	v_mul_f32_e32 v18, v37, v57
	;; [unrolled: 2-line block ×3, first 2 shown]
	v_mul_f32_e32 v37, v39, v50
	v_fma_f32 v34, v40, v47, -v34
	v_fmac_f32_e32 v37, v33, v49
	v_mul_f32_e32 v33, v33, v50
	v_add_f32_e32 v40, v23, v19
	v_fma_f32 v33, v39, v49, -v33
	v_add_f32_e32 v39, v31, v23
	v_fmac_f32_e32 v31, -0.5, v40
	v_fma_f32 v22, v42, v58, -v22
	v_fma_f32 v24, v41, v45, -v24
	v_sub_f32_e32 v40, v11, v7
	v_mov_b32_e32 v41, v31
	v_add_f32_e32 v42, v61, v64
	v_fmac_f32_e32 v41, 0xbf5db3d7, v40
	v_fmac_f32_e32 v31, 0x3f5db3d7, v40
	v_add_f32_e32 v40, v38, v61
	v_fmac_f32_e32 v38, -0.5, v42
	v_fma_f32 v18, v44, v56, -v18
	v_sub_f32_e32 v42, v9, v5
	v_mov_b32_e32 v44, v38
	v_fmac_f32_e32 v44, 0xbf5db3d7, v42
	v_fmac_f32_e32 v38, 0x3f5db3d7, v42
	v_add_f32_e32 v42, v9, v5
	v_fma_f32 v45, -0.5, v42, v13
	v_sub_f32_e32 v42, v61, v64
	v_mov_b32_e32 v46, v45
	v_fmac_f32_e32 v45, 0xbf5db3d7, v42
	v_add_f32_e32 v39, v39, v19
	v_add_f32_e32 v40, v40, v64
	v_fmac_f32_e32 v46, 0x3f5db3d7, v42
	v_mul_f32_e32 v48, 0xbf5db3d7, v45
	v_add_f32_e32 v42, v39, v40
	v_mul_f32_e32 v47, 0xbf5db3d7, v46
	v_fmac_f32_e32 v48, -0.5, v38
	v_sub_f32_e32 v57, v39, v40
	v_add_f32_e32 v39, v17, v20
	v_fmac_f32_e32 v47, 0.5, v44
	v_add_f32_e32 v56, v31, v48
	v_sub_f32_e32 v59, v31, v48
	v_add_f32_e32 v31, v29, v17
	v_fmac_f32_e32 v29, -0.5, v39
	v_add_f32_e32 v50, v41, v47
	v_sub_f32_e32 v58, v41, v47
	v_sub_f32_e32 v39, v12, v8
	v_mov_b32_e32 v40, v29
	v_add_f32_e32 v41, v51, v60
	v_fmac_f32_e32 v40, 0xbf5db3d7, v39
	v_fmac_f32_e32 v29, 0x3f5db3d7, v39
	v_add_f32_e32 v39, v15, v51
	v_fmac_f32_e32 v15, -0.5, v41
	v_sub_f32_e32 v41, v10, v6
	v_mov_b32_e32 v47, v15
	v_fmac_f32_e32 v47, 0xbf5db3d7, v41
	v_fmac_f32_e32 v15, 0x3f5db3d7, v41
	v_add_f32_e32 v41, v10, v6
	v_fma_f32 v48, -0.5, v41, v14
	v_sub_f32_e32 v41, v51, v60
	v_mov_b32_e32 v51, v48
	v_add_f32_e32 v31, v31, v20
	v_add_f32_e32 v39, v39, v60
	v_fmac_f32_e32 v51, 0x3f5db3d7, v41
	v_fmac_f32_e32 v48, 0xbf5db3d7, v41
	v_add_f32_e32 v60, v31, v39
	v_mul_f32_e32 v41, 0xbf5db3d7, v51
	v_sub_f32_e32 v68, v31, v39
	v_add_f32_e32 v31, v36, v37
	v_fmac_f32_e32 v41, 0.5, v47
	v_fma_f32 v31, -0.5, v31, v43
	v_add_f32_e32 v61, v40, v41
	v_sub_f32_e32 v69, v40, v41
	v_sub_f32_e32 v40, v24, v33
	v_mov_b32_e32 v39, v31
	v_mul_f32_e32 v49, 0xbf5db3d7, v48
	v_fmac_f32_e32 v39, 0xbf5db3d7, v40
	v_fmac_f32_e32 v31, 0x3f5db3d7, v40
	v_add_f32_e32 v40, v24, v33
	v_fmac_f32_e32 v49, -0.5, v15
	v_fma_f32 v40, -0.5, v40, v18
	v_add_f32_e32 v64, v29, v49
	v_sub_f32_e32 v29, v29, v49
	v_sub_f32_e32 v49, v36, v37
	v_mov_b32_e32 v41, v40
	v_fmac_f32_e32 v41, 0x3f5db3d7, v49
	v_fmac_f32_e32 v40, 0xbf5db3d7, v49
	v_mul_u32_u24_e32 v49, 0x1b0, v62
	v_mov_b32_e32 v62, 2
	v_lshlrev_b32_sdwa v63, v62, v63 dst_sel:DWORD dst_unused:UNUSED_PAD src0_sel:DWORD src1_sel:BYTE_0
	v_add3_u32 v49, 0, v49, v63
	ds_write2_b32 v49, v42, v50 offset1:18
	ds_write2_b32 v49, v56, v57 offset0:36 offset1:54
	ds_write2_b32 v49, v58, v59 offset0:72 offset1:90
	v_mul_u32_u24_e32 v42, 0x1b0, v65
	v_lshlrev_b32_sdwa v50, v62, v66 dst_sel:DWORD dst_unused:UNUSED_PAD src0_sel:DWORD src1_sel:BYTE_0
	v_add3_u32 v50, 0, v42, v50
	v_lshlrev_b32_e32 v42, 2, v67
	ds_write2_b32 v50, v60, v61 offset1:18
	ds_write2_b32 v50, v64, v68 offset0:36 offset1:54
	ds_write2_b32 v50, v69, v29 offset0:72 offset1:90
	s_and_saveexec_b64 s[2:3], s[0:1]
	s_cbranch_execz .LBB0_33
; %bb.32:
	v_add_f32_e32 v29, v21, v35
	v_fma_f32 v29, -0.5, v29, v27
	v_add_f32_e32 v27, v27, v21
	v_add_f32_e32 v36, v43, v36
	v_sub_f32_e32 v56, v22, v34
	v_mov_b32_e32 v57, v29
	v_add_f32_e32 v27, v27, v35
	v_add_f32_e32 v36, v36, v37
	v_fmac_f32_e32 v57, 0x3f5db3d7, v56
	v_fmac_f32_e32 v29, 0xbf5db3d7, v56
	v_mul_f32_e32 v56, 0xbf5db3d7, v41
	v_sub_f32_e32 v37, v27, v36
	v_add_f32_e32 v27, v27, v36
	v_mul_lo_u16_e32 v36, 0x6c, v16
	v_mul_f32_e32 v58, 0xbf5db3d7, v40
	v_fmac_f32_e32 v56, 0.5, v39
	v_lshlrev_b32_e32 v36, 2, v36
	v_fmac_f32_e32 v58, -0.5, v31
	v_sub_f32_e32 v60, v29, v56
	v_add_f32_e32 v29, v29, v56
	v_add3_u32 v36, 0, v42, v36
	v_sub_f32_e32 v59, v57, v58
	v_add_f32_e32 v43, v57, v58
	ds_write2_b32 v36, v27, v29 offset1:18
	ds_write2_b32 v36, v43, v37 offset0:36 offset1:54
	ds_write2_b32 v36, v60, v59 offset0:72 offset1:90
.LBB0_33:
	s_or_b64 exec, exec, s[2:3]
	v_add_f32_e32 v27, v32, v11
	v_add_f32_e32 v27, v27, v7
	;; [unrolled: 1-line block ×3, first 2 shown]
	v_fmac_f32_e32 v32, -0.5, v7
	v_sub_f32_e32 v7, v23, v19
	v_mov_b32_e32 v11, v32
	v_fmac_f32_e32 v11, 0x3f5db3d7, v7
	v_fmac_f32_e32 v32, 0xbf5db3d7, v7
	v_add_f32_e32 v7, v13, v9
	v_add_f32_e32 v5, v7, v5
	v_mul_f32_e32 v7, 0.5, v46
	v_fmac_f32_e32 v7, 0x3f5db3d7, v44
	v_add_f32_e32 v37, v11, v7
	v_sub_f32_e32 v44, v11, v7
	v_add_f32_e32 v7, v12, v8
	v_add_f32_e32 v36, v27, v5
	v_sub_f32_e32 v43, v27, v5
	v_add_f32_e32 v5, v30, v12
	v_fmac_f32_e32 v30, -0.5, v7
	v_add_f32_e32 v5, v5, v8
	v_sub_f32_e32 v7, v17, v20
	v_mov_b32_e32 v8, v30
	v_mul_f32_e32 v9, -0.5, v45
	v_fmac_f32_e32 v8, 0x3f5db3d7, v7
	v_fmac_f32_e32 v30, 0xbf5db3d7, v7
	v_add_f32_e32 v7, v14, v10
	v_fmac_f32_e32 v9, 0x3f5db3d7, v38
	v_add_f32_e32 v6, v7, v6
	v_mul_f32_e32 v7, 0.5, v51
	v_add_f32_e32 v38, v32, v9
	v_sub_f32_e32 v45, v32, v9
	v_fmac_f32_e32 v7, 0x3f5db3d7, v47
	v_mul_f32_e32 v9, -0.5, v48
	v_add_f32_e32 v46, v5, v6
	v_add_f32_e32 v47, v8, v7
	v_fmac_f32_e32 v9, 0x3f5db3d7, v15
	v_sub_f32_e32 v51, v5, v6
	v_sub_f32_e32 v56, v8, v7
	v_add_u32_e32 v5, 0x800, v0
	v_add_u32_e32 v7, 0x1000, v0
	v_add_f32_e32 v48, v30, v9
	v_sub_f32_e32 v57, v30, v9
	s_waitcnt lgkmcnt(0)
	s_barrier
	ds_read_b32 v27, v26
	v_lshl_add_u32 v29, v54, 2, 0
	v_lshl_add_u32 v30, v55, 2, 0
	ds_read_b32 v15, v0
	ds_read_b32 v23, v29
	;; [unrolled: 1-line block ×3, first 2 shown]
	v_lshl_add_u32 v32, v53, 2, 0
	ds_read_b32 v19, v25
	ds_read_b32 v20, v32 offset:2160
	ds_read2_b32 v[11:12], v5 offset0:136 offset1:244
	v_add_u32_e32 v5, 0xc00, v0
	ds_read2_b32 v[9:10], v7 offset0:56 offset1:164
	v_add_u32_e32 v7, 0x1400, v0
	v_add_u32_e32 v13, 0x1600, v0
	ds_read2_b32 v[5:6], v5 offset0:96 offset1:204
	ds_read2_b32 v[7:8], v7 offset0:16 offset1:124
	;; [unrolled: 1-line block ×3, first 2 shown]
	s_waitcnt lgkmcnt(0)
	s_barrier
	ds_write2_b32 v49, v36, v37 offset1:18
	ds_write2_b32 v49, v38, v43 offset0:36 offset1:54
	ds_write2_b32 v49, v44, v45 offset0:72 offset1:90
	ds_write2_b32 v50, v46, v47 offset1:18
	ds_write2_b32 v50, v48, v51 offset0:36 offset1:54
	ds_write2_b32 v50, v56, v57 offset0:72 offset1:90
	s_and_saveexec_b64 s[2:3], s[0:1]
	s_cbranch_execz .LBB0_35
; %bb.34:
	v_add_f32_e32 v36, v28, v22
	v_add_f32_e32 v22, v22, v34
	v_fmac_f32_e32 v28, -0.5, v22
	v_sub_f32_e32 v21, v21, v35
	v_mov_b32_e32 v22, v28
	v_add_f32_e32 v18, v18, v24
	v_mul_f32_e32 v24, 0.5, v41
	v_mul_lo_u16_e32 v16, 0x6c, v16
	v_add_f32_e32 v36, v36, v34
	v_fmac_f32_e32 v22, 0x3f5db3d7, v21
	v_add_f32_e32 v18, v18, v33
	v_fmac_f32_e32 v24, 0x3f5db3d7, v39
	v_mul_f32_e32 v34, -0.5, v40
	v_lshlrev_b32_e32 v16, 2, v16
	v_fmac_f32_e32 v28, 0xbf5db3d7, v21
	v_add_f32_e32 v21, v36, v18
	v_add_f32_e32 v33, v22, v24
	v_fmac_f32_e32 v34, 0x3f5db3d7, v31
	v_add3_u32 v16, 0, v42, v16
	v_add_f32_e32 v31, v28, v34
	v_sub_f32_e32 v18, v36, v18
	v_sub_f32_e32 v22, v22, v24
	;; [unrolled: 1-line block ×3, first 2 shown]
	ds_write2_b32 v16, v21, v33 offset1:18
	ds_write2_b32 v16, v31, v18 offset0:36 offset1:54
	ds_write2_b32 v16, v22, v24 offset0:72 offset1:90
.LBB0_35:
	s_or_b64 exec, exec, s[2:3]
	s_waitcnt lgkmcnt(0)
	s_barrier
	s_and_saveexec_b64 s[0:1], vcc
	s_cbranch_execz .LBB0_37
; %bb.36:
	v_mul_u32_u24_e32 v16, 15, v53
	v_lshlrev_b32_e32 v16, 3, v16
	global_load_dwordx4 v[33:36], v16, s[12:13] offset:840
	global_load_dwordx4 v[37:40], v16, s[12:13] offset:904
	;; [unrolled: 1-line block ×7, first 2 shown]
	global_load_dwordx2 v[21:22], v16, s[12:13] offset:952
	v_mul_lo_u32 v16, s5, v3
	v_mul_lo_u32 v18, s4, v4
	v_mad_u64_u32 v[3:4], s[0:1], s4, v3, 0
	v_add_u32_e32 v24, 0x1000, v0
	v_add_u32_e32 v28, 0x800, v0
	v_add_u32_e32 v31, 0x1600, v0
	v_add_u32_e32 v49, 0xc00, v0
	ds_read_b32 v26, v26
	ds_read_b32 v51, v0
	v_add_u32_e32 v0, 0x1400, v0
	ds_read_b32 v67, v25
	ds_read_b32 v32, v32 offset:2160
	ds_read_b32 v68, v30
	ds_read_b32 v69, v29
	ds_read2_b32 v[24:25], v24 offset0:56 offset1:164
	ds_read2_b32 v[28:29], v28 offset0:136 offset1:244
	;; [unrolled: 1-line block ×5, first 2 shown]
	v_add3_u32 v4, v4, v18, v16
	v_lshlrev_b64 v[3:4], 3, v[3:4]
	s_waitcnt vmcnt(7)
	v_mul_f32_e32 v0, v27, v36
	s_waitcnt vmcnt(6)
	v_mul_f32_e32 v16, v9, v40
	;; [unrolled: 2-line block ×3, first 2 shown]
	v_mul_f32_e32 v11, v11, v44
	s_waitcnt vmcnt(3)
	v_mul_f32_e32 v75, v12, v53
	v_mul_f32_e32 v12, v12, v54
	s_waitcnt lgkmcnt(4)
	v_mul_f32_e32 v40, v24, v40
	s_waitcnt lgkmcnt(3)
	v_fmac_f32_e32 v18, v28, v44
	v_fma_f32 v28, v28, v43, -v11
	v_fmac_f32_e32 v75, v29, v54
	v_fma_f32 v12, v29, v53, -v12
	s_waitcnt vmcnt(0)
	v_mul_f32_e32 v11, v14, v21
	v_mul_f32_e32 v29, v19, v34
	;; [unrolled: 1-line block ×4, first 2 shown]
	v_fmac_f32_e32 v40, v9, v39
	s_waitcnt lgkmcnt(2)
	v_fmac_f32_e32 v11, v31, v22
	v_fma_f32 v22, v67, v33, -v29
	s_waitcnt lgkmcnt(1)
	v_fma_f32 v9, v50, v37, -v43
	v_mul_f32_e32 v36, v26, v36
	v_fma_f32 v16, v24, v39, -v16
	v_fma_f32 v0, v26, v35, -v0
	v_mul_f32_e32 v26, v8, v45
	v_sub_f32_e32 v39, v22, v9
	v_mul_f32_e32 v9, v20, v42
	v_mul_f32_e32 v8, v8, v46
	;; [unrolled: 1-line block ×3, first 2 shown]
	v_fma_f32 v20, v32, v41, -v9
	s_waitcnt lgkmcnt(0)
	v_fma_f32 v8, v66, v45, -v8
	v_fmac_f32_e32 v44, v32, v42
	v_sub_f32_e32 v32, v20, v8
	v_mul_f32_e32 v34, v67, v34
	v_mul_f32_e32 v8, v50, v38
	;; [unrolled: 1-line block ×3, first 2 shown]
	v_fmac_f32_e32 v34, v19, v33
	v_fmac_f32_e32 v8, v6, v37
	v_mul_f32_e32 v70, v13, v47
	v_mul_f32_e32 v71, v5, v56
	v_mul_f32_e32 v72, v17, v59
	v_mul_f32_e32 v73, v7, v63
	v_fma_f32 v24, v25, v61, -v76
	v_mul_f32_e32 v25, v25, v62
	v_fma_f32 v14, v31, v21, -v14
	v_sub_f32_e32 v19, v34, v8
	v_mul_f32_e32 v8, v17, v60
	v_mul_f32_e32 v13, v13, v48
	;; [unrolled: 1-line block ×3, first 2 shown]
	v_fmac_f32_e32 v70, v30, v48
	v_fma_f32 v48, v49, v55, -v71
	v_fmac_f32_e32 v72, v68, v60
	v_fmac_f32_e32 v73, v65, v64
	;; [unrolled: 1-line block ×3, first 2 shown]
	v_sub_f32_e32 v10, v12, v14
	v_mul_f32_e32 v14, v69, v58
	v_fma_f32 v17, v68, v59, -v8
	v_mul_f32_e32 v7, v7, v64
	v_mul_f32_e32 v8, v49, v56
	v_fma_f32 v13, v30, v47, -v13
	v_fmac_f32_e32 v36, v27, v35
	v_fma_f32 v27, v69, v57, -v74
	v_sub_f32_e32 v29, v51, v48
	v_sub_f32_e32 v30, v72, v73
	v_fmac_f32_e32 v26, v66, v46
	v_fmac_f32_e32 v14, v23, v57
	v_fma_f32 v7, v65, v63, -v7
	v_fmac_f32_e32 v8, v5, v55
	v_sub_f32_e32 v16, v0, v16
	v_sub_f32_e32 v21, v18, v70
	;; [unrolled: 1-line block ×12, first 2 shown]
	v_add_f32_e32 v47, v35, v31
	v_mov_b32_e32 v53, v43
	v_sub_f32_e32 v26, v39, v13
	v_add_f32_e32 v25, v23, v10
	v_add_f32_e32 v33, v19, v32
	;; [unrolled: 1-line block ×3, first 2 shown]
	v_fma_f32 v7, v17, 2.0, -v7
	v_fma_f32 v36, v36, 2.0, -v35
	;; [unrolled: 1-line block ×5, first 2 shown]
	v_sub_f32_e32 v48, v24, v11
	v_fmac_f32_e32 v53, 0x3f3504f3, v40
	v_mov_b32_e32 v54, v26
	v_mov_b32_e32 v37, v33
	;; [unrolled: 1-line block ×3, first 2 shown]
	v_sub_f32_e32 v18, v36, v17
	v_fma_f32 v22, v22, 2.0, -v39
	v_fma_f32 v17, v20, 2.0, -v32
	;; [unrolled: 1-line block ×3, first 2 shown]
	v_sub_f32_e32 v50, v27, v10
	v_fma_f32 v34, v34, 2.0, -v19
	v_fma_f32 v10, v44, 2.0, -v13
	;; [unrolled: 1-line block ×6, first 2 shown]
	v_fmac_f32_e32 v53, 0xbf3504f3, v47
	v_fmac_f32_e32 v54, 0x3f3504f3, v48
	;; [unrolled: 1-line block ×4, first 2 shown]
	v_sub_f32_e32 v32, v22, v17
	v_sub_f32_e32 v44, v34, v10
	v_fma_f32 v10, v28, 2.0, -v31
	v_fma_f32 v17, v24, 2.0, -v48
	v_mov_b32_e32 v39, v35
	v_fma_f32 v47, v19, 2.0, -v33
	v_fmac_f32_e32 v54, 0xbf3504f3, v25
	v_fmac_f32_e32 v37, 0x3f3504f3, v48
	v_fma_f32 v45, v51, 2.0, -v29
	v_sub_f32_e32 v28, v0, v10
	v_fma_f32 v31, v15, 2.0, -v38
	v_fma_f32 v10, v72, 2.0, -v30
	v_fmac_f32_e32 v39, 0xbf3504f3, v17
	v_fma_f32 v23, v23, 2.0, -v25
	v_mov_b32_e32 v48, v47
	v_fma_f32 v58, v34, 2.0, -v44
	v_fma_f32 v34, v22, 2.0, -v32
	;; [unrolled: 1-line block ×3, first 2 shown]
	v_sub_f32_e32 v7, v45, v7
	v_sub_f32_e32 v30, v31, v10
	v_fmac_f32_e32 v39, 0xbf3504f3, v23
	v_fmac_f32_e32 v48, 0xbf3504f3, v23
	v_fma_f32 v24, v26, 2.0, -v54
	v_mov_b32_e32 v23, v22
	v_fmac_f32_e32 v42, 0x3f3504f3, v40
	v_sub_f32_e32 v46, v7, v18
	v_fma_f32 v60, v31, 2.0, -v30
	v_fma_f32 v18, v36, 2.0, -v18
	v_fmac_f32_e32 v23, 0xbec3ef15, v24
	v_fma_f32 v26, v33, 2.0, -v37
	v_sub_f32_e32 v36, v60, v18
	v_fma_f32 v18, v27, 2.0, -v50
	v_fmac_f32_e32 v23, 0xbf6c835e, v26
	v_fma_f32 v27, v41, 2.0, -v42
	v_fma_f32 v11, v75, 2.0, -v11
	;; [unrolled: 1-line block ×3, first 2 shown]
	v_mov_b32_e32 v22, v27
	v_sub_f32_e32 v21, v20, v11
	v_fmac_f32_e32 v22, 0xbec3ef15, v26
	v_sub_f32_e32 v49, v32, v21
	v_fma_f32 v45, v45, 2.0, -v7
	v_fmac_f32_e32 v22, 0x3f6c835e, v24
	v_fma_f32 v7, v7, 2.0, -v46
	v_add_f32_e32 v51, v50, v44
	v_add_f32_e32 v55, v28, v30
	v_fma_f32 v0, v0, 2.0, -v28
	v_fma_f32 v24, v27, 2.0, -v22
	;; [unrolled: 1-line block ×3, first 2 shown]
	v_mov_b32_e32 v27, v7
	v_fmac_f32_e32 v27, 0xbf3504f3, v28
	v_fma_f32 v31, v44, 2.0, -v51
	v_fmac_f32_e32 v27, 0xbf3504f3, v31
	v_fma_f32 v56, v29, 2.0, -v43
	v_fma_f32 v29, v7, 2.0, -v27
	;; [unrolled: 1-line block ×3, first 2 shown]
	v_mov_b32_e32 v40, v56
	v_mov_b32_e32 v26, v7
	v_fmac_f32_e32 v40, 0xbf3504f3, v14
	v_fmac_f32_e32 v26, 0xbf3504f3, v31
	;; [unrolled: 1-line block ×4, first 2 shown]
	v_fma_f32 v38, v38, 2.0, -v41
	v_fma_f32 v28, v7, 2.0, -v26
	;; [unrolled: 1-line block ×3, first 2 shown]
	v_fmac_f32_e32 v48, 0x3f3504f3, v17
	v_mov_b32_e32 v57, v38
	v_fma_f32 v32, v35, 2.0, -v39
	v_mov_b32_e32 v31, v7
	v_fmac_f32_e32 v57, 0xbf3504f3, v16
	v_fmac_f32_e32 v31, 0xbf6c835e, v32
	v_fma_f32 v35, v47, 2.0, -v48
	v_fmac_f32_e32 v57, 0x3f3504f3, v14
	v_fmac_f32_e32 v31, 0xbec3ef15, v35
	v_fma_f32 v33, v7, 2.0, -v31
	v_fma_f32 v7, v38, 2.0, -v57
	v_mov_b32_e32 v30, v7
	v_fmac_f32_e32 v30, 0xbf6c835e, v35
	v_fma_f32 v19, v20, 2.0, -v21
	v_sub_f32_e32 v50, v34, v18
	v_fmac_f32_e32 v30, 0x3ec3ef15, v32
	v_sub_f32_e32 v0, v45, v0
	v_sub_f32_e32 v59, v58, v19
	v_fma_f32 v32, v7, 2.0, -v30
	v_fma_f32 v7, v34, 2.0, -v50
	v_mad_u64_u32 v[34:35], s[0:1], s20, v52, 0
	v_mov_b32_e32 v9, v53
	v_sub_f32_e32 v19, v0, v59
	v_fmac_f32_e32 v9, 0x3f6c835e, v54
	v_mov_b32_e32 v8, v42
	v_mov_b32_e32 v14, v57
	v_fma_f32 v21, v0, 2.0, -v19
	v_fma_f32 v0, v45, 2.0, -v0
	v_fmac_f32_e32 v9, 0xbec3ef15, v37
	v_fmac_f32_e32 v8, 0x3f6c835e, v37
	v_mov_b32_e32 v15, v40
	v_fmac_f32_e32 v14, 0x3ec3ef15, v48
	v_sub_f32_e32 v37, v0, v7
	v_fmac_f32_e32 v15, 0x3ec3ef15, v39
	v_fmac_f32_e32 v14, 0x3f6c835e, v39
	v_add_f32_e32 v18, v36, v50
	v_fma_f32 v39, v0, 2.0, -v37
	v_mov_b32_e32 v0, v35
	v_fma_f32 v20, v36, 2.0, -v18
	v_fma_f32 v7, v60, 2.0, -v36
	v_mad_u64_u32 v[35:36], s[0:1], s21, v52, v[0:1]
	v_fma_f32 v0, v58, 2.0, -v59
	v_fmac_f32_e32 v15, 0xbf6c835e, v48
	v_sub_f32_e32 v36, v7, v0
	v_fma_f32 v17, v40, 2.0, -v15
	v_fma_f32 v38, v7, 2.0, -v36
	v_mov_b32_e32 v0, s11
	v_add_co_u32_e32 v7, vcc, s10, v3
	v_add_u32_e32 v40, 0x6c, v52
	v_addc_co_u32_e32 v4, vcc, v0, v4, vcc
	v_lshlrev_b64 v[0:1], 3, v[1:2]
	v_mad_u64_u32 v[2:3], s[0:1], s20, v40, 0
	v_add_co_u32_e32 v7, vcc, v7, v0
	v_addc_co_u32_e32 v41, vcc, v4, v1, vcc
	v_lshlrev_b64 v[0:1], 3, v[34:35]
	v_mad_u64_u32 v[3:4], s[0:1], s21, v40, v[3:4]
	v_add_co_u32_e32 v0, vcc, v7, v0
	v_addc_co_u32_e32 v1, vcc, v41, v1, vcc
	v_add_u32_e32 v4, 0xd8, v52
	global_store_dwordx2 v[0:1], v[38:39], off
	v_lshlrev_b64 v[0:1], 3, v[2:3]
	v_mad_u64_u32 v[2:3], s[0:1], s20, v4, 0
	v_add_co_u32_e32 v0, vcc, v7, v0
	v_mad_u64_u32 v[3:4], s[0:1], s21, v4, v[3:4]
	v_add_u32_e32 v4, 0x144, v52
	v_mad_u64_u32 v[34:35], s[0:1], s20, v4, 0
	v_addc_co_u32_e32 v1, vcc, v41, v1, vcc
	global_store_dwordx2 v[0:1], v[32:33], off
	v_lshlrev_b64 v[0:1], 3, v[2:3]
	v_mov_b32_e32 v2, v35
	v_mad_u64_u32 v[2:3], s[0:1], s21, v4, v[2:3]
	v_add_u32_e32 v4, 0x1b0, v52
	v_add_co_u32_e32 v0, vcc, v7, v0
	v_mov_b32_e32 v35, v2
	v_mad_u64_u32 v[2:3], s[0:1], s20, v4, 0
	v_addc_co_u32_e32 v1, vcc, v41, v1, vcc
	v_mad_u64_u32 v[3:4], s[0:1], s21, v4, v[3:4]
	v_add_u32_e32 v4, 0x21c, v52
	global_store_dwordx2 v[0:1], v[28:29], off
	v_lshlrev_b64 v[0:1], 3, v[34:35]
	v_mad_u64_u32 v[28:29], s[0:1], s20, v4, 0
	v_add_co_u32_e32 v0, vcc, v7, v0
	v_addc_co_u32_e32 v1, vcc, v41, v1, vcc
	global_store_dwordx2 v[0:1], v[24:25], off
	v_lshlrev_b64 v[0:1], 3, v[2:3]
	v_mov_b32_e32 v2, v29
	v_mad_u64_u32 v[2:3], s[0:1], s21, v4, v[2:3]
	v_add_u32_e32 v4, 0x288, v52
	v_add_co_u32_e32 v0, vcc, v7, v0
	v_mov_b32_e32 v29, v2
	v_mad_u64_u32 v[2:3], s[0:1], s20, v4, 0
	v_addc_co_u32_e32 v1, vcc, v41, v1, vcc
	v_mad_u64_u32 v[3:4], s[0:1], s21, v4, v[3:4]
	v_add_u32_e32 v4, 0x2f4, v52
	global_store_dwordx2 v[0:1], v[20:21], off
	v_lshlrev_b64 v[0:1], 3, v[28:29]
	v_mad_u64_u32 v[20:21], s[0:1], s20, v4, 0
	v_add_co_u32_e32 v0, vcc, v7, v0
	v_fma_f32 v16, v57, 2.0, -v14
	v_addc_co_u32_e32 v1, vcc, v41, v1, vcc
	global_store_dwordx2 v[0:1], v[16:17], off
	v_lshlrev_b64 v[0:1], 3, v[2:3]
	v_mov_b32_e32 v2, v21
	v_mad_u64_u32 v[2:3], s[0:1], s21, v4, v[2:3]
	v_add_u32_e32 v4, 0x360, v52
	v_mov_b32_e32 v11, v46
	v_mov_b32_e32 v21, v2
	v_mad_u64_u32 v[2:3], s[0:1], s20, v4, 0
	v_mov_b32_e32 v10, v55
	v_fmac_f32_e32 v11, 0x3f3504f3, v49
	v_fmac_f32_e32 v10, 0x3f3504f3, v51
	;; [unrolled: 1-line block ×4, first 2 shown]
	v_add_co_u32_e32 v0, vcc, v7, v0
	v_mad_u64_u32 v[3:4], s[0:1], s21, v4, v[3:4]
	v_fma_f32 v13, v46, 2.0, -v11
	v_fma_f32 v12, v55, 2.0, -v10
	v_addc_co_u32_e32 v1, vcc, v41, v1, vcc
	v_add_u32_e32 v4, 0x3cc, v52
	global_store_dwordx2 v[0:1], v[12:13], off
	v_lshlrev_b64 v[0:1], 3, v[20:21]
	v_mad_u64_u32 v[12:13], s[0:1], s20, v4, 0
	v_fmac_f32_e32 v8, 0x3ec3ef15, v54
	v_add_co_u32_e32 v0, vcc, v7, v0
	v_fma_f32 v6, v53, 2.0, -v9
	v_fma_f32 v5, v42, 2.0, -v8
	v_addc_co_u32_e32 v1, vcc, v41, v1, vcc
	global_store_dwordx2 v[0:1], v[5:6], off
	v_lshlrev_b64 v[0:1], 3, v[2:3]
	v_mov_b32_e32 v2, v13
	v_mad_u64_u32 v[2:3], s[0:1], s21, v4, v[2:3]
	v_add_u32_e32 v4, 0x438, v52
	v_add_co_u32_e32 v0, vcc, v7, v0
	v_mov_b32_e32 v13, v2
	v_mad_u64_u32 v[2:3], s[0:1], s20, v4, 0
	v_addc_co_u32_e32 v1, vcc, v41, v1, vcc
	v_mad_u64_u32 v[3:4], s[0:1], s21, v4, v[3:4]
	v_add_u32_e32 v6, 0x4a4, v52
	global_store_dwordx2 v[0:1], v[36:37], off
	v_lshlrev_b64 v[0:1], 3, v[12:13]
	v_mad_u64_u32 v[4:5], s[0:1], s20, v6, 0
	v_add_co_u32_e32 v0, vcc, v7, v0
	v_addc_co_u32_e32 v1, vcc, v41, v1, vcc
	global_store_dwordx2 v[0:1], v[30:31], off
	v_lshlrev_b64 v[0:1], 3, v[2:3]
	v_mov_b32_e32 v2, v5
	v_mad_u64_u32 v[2:3], s[0:1], s21, v6, v[2:3]
	v_add_co_u32_e32 v0, vcc, v7, v0
	v_addc_co_u32_e32 v1, vcc, v41, v1, vcc
	v_mov_b32_e32 v5, v2
	global_store_dwordx2 v[0:1], v[26:27], off
	v_lshlrev_b64 v[0:1], 3, v[4:5]
	v_add_u32_e32 v4, 0x510, v52
	v_mad_u64_u32 v[2:3], s[0:1], s20, v4, 0
	v_add_u32_e32 v6, 0x57c, v52
	v_add_co_u32_e32 v0, vcc, v7, v0
	v_mad_u64_u32 v[3:4], s[0:1], s21, v4, v[3:4]
	v_mad_u64_u32 v[4:5], s[0:1], s20, v6, 0
	v_addc_co_u32_e32 v1, vcc, v41, v1, vcc
	global_store_dwordx2 v[0:1], v[22:23], off
	v_lshlrev_b64 v[0:1], 3, v[2:3]
	v_mov_b32_e32 v2, v5
	v_mad_u64_u32 v[2:3], s[0:1], s21, v6, v[2:3]
	v_add_co_u32_e32 v0, vcc, v7, v0
	v_addc_co_u32_e32 v1, vcc, v41, v1, vcc
	v_mov_b32_e32 v5, v2
	global_store_dwordx2 v[0:1], v[18:19], off
	v_lshlrev_b64 v[0:1], 3, v[4:5]
	v_add_u32_e32 v4, 0x5e8, v52
	v_mad_u64_u32 v[2:3], s[0:1], s20, v4, 0
	v_add_u32_e32 v6, 0x654, v52
	v_add_co_u32_e32 v0, vcc, v7, v0
	v_mad_u64_u32 v[3:4], s[0:1], s21, v4, v[3:4]
	v_mad_u64_u32 v[4:5], s[0:1], s20, v6, 0
	v_addc_co_u32_e32 v1, vcc, v41, v1, vcc
	global_store_dwordx2 v[0:1], v[14:15], off
	v_lshlrev_b64 v[0:1], 3, v[2:3]
	v_mov_b32_e32 v2, v5
	v_mad_u64_u32 v[2:3], s[0:1], s21, v6, v[2:3]
	v_add_co_u32_e32 v0, vcc, v7, v0
	v_addc_co_u32_e32 v1, vcc, v41, v1, vcc
	v_mov_b32_e32 v5, v2
	global_store_dwordx2 v[0:1], v[10:11], off
	v_lshlrev_b64 v[0:1], 3, v[4:5]
	v_add_co_u32_e32 v0, vcc, v7, v0
	v_addc_co_u32_e32 v1, vcc, v41, v1, vcc
	global_store_dwordx2 v[0:1], v[8:9], off
.LBB0_37:
	s_endpgm
	.section	.rodata,"a",@progbits
	.p2align	6, 0x0
	.amdhsa_kernel fft_rtc_back_len1728_factors_3_6_6_16_wgs_108_tpt_108_halfLds_sp_op_CI_CI_sbrr_dirReg
		.amdhsa_group_segment_fixed_size 0
		.amdhsa_private_segment_fixed_size 0
		.amdhsa_kernarg_size 104
		.amdhsa_user_sgpr_count 6
		.amdhsa_user_sgpr_private_segment_buffer 1
		.amdhsa_user_sgpr_dispatch_ptr 0
		.amdhsa_user_sgpr_queue_ptr 0
		.amdhsa_user_sgpr_kernarg_segment_ptr 1
		.amdhsa_user_sgpr_dispatch_id 0
		.amdhsa_user_sgpr_flat_scratch_init 0
		.amdhsa_user_sgpr_private_segment_size 0
		.amdhsa_uses_dynamic_stack 0
		.amdhsa_system_sgpr_private_segment_wavefront_offset 0
		.amdhsa_system_sgpr_workgroup_id_x 1
		.amdhsa_system_sgpr_workgroup_id_y 0
		.amdhsa_system_sgpr_workgroup_id_z 0
		.amdhsa_system_sgpr_workgroup_info 0
		.amdhsa_system_vgpr_workitem_id 0
		.amdhsa_next_free_vgpr 77
		.amdhsa_next_free_sgpr 32
		.amdhsa_reserve_vcc 1
		.amdhsa_reserve_flat_scratch 0
		.amdhsa_float_round_mode_32 0
		.amdhsa_float_round_mode_16_64 0
		.amdhsa_float_denorm_mode_32 3
		.amdhsa_float_denorm_mode_16_64 3
		.amdhsa_dx10_clamp 1
		.amdhsa_ieee_mode 1
		.amdhsa_fp16_overflow 0
		.amdhsa_exception_fp_ieee_invalid_op 0
		.amdhsa_exception_fp_denorm_src 0
		.amdhsa_exception_fp_ieee_div_zero 0
		.amdhsa_exception_fp_ieee_overflow 0
		.amdhsa_exception_fp_ieee_underflow 0
		.amdhsa_exception_fp_ieee_inexact 0
		.amdhsa_exception_int_div_zero 0
	.end_amdhsa_kernel
	.text
.Lfunc_end0:
	.size	fft_rtc_back_len1728_factors_3_6_6_16_wgs_108_tpt_108_halfLds_sp_op_CI_CI_sbrr_dirReg, .Lfunc_end0-fft_rtc_back_len1728_factors_3_6_6_16_wgs_108_tpt_108_halfLds_sp_op_CI_CI_sbrr_dirReg
                                        ; -- End function
	.section	.AMDGPU.csdata,"",@progbits
; Kernel info:
; codeLenInByte = 9856
; NumSgprs: 36
; NumVgprs: 77
; ScratchSize: 0
; MemoryBound: 0
; FloatMode: 240
; IeeeMode: 1
; LDSByteSize: 0 bytes/workgroup (compile time only)
; SGPRBlocks: 4
; VGPRBlocks: 19
; NumSGPRsForWavesPerEU: 36
; NumVGPRsForWavesPerEU: 77
; Occupancy: 3
; WaveLimiterHint : 1
; COMPUTE_PGM_RSRC2:SCRATCH_EN: 0
; COMPUTE_PGM_RSRC2:USER_SGPR: 6
; COMPUTE_PGM_RSRC2:TRAP_HANDLER: 0
; COMPUTE_PGM_RSRC2:TGID_X_EN: 1
; COMPUTE_PGM_RSRC2:TGID_Y_EN: 0
; COMPUTE_PGM_RSRC2:TGID_Z_EN: 0
; COMPUTE_PGM_RSRC2:TIDIG_COMP_CNT: 0
	.type	__hip_cuid_931a7bb570908464,@object ; @__hip_cuid_931a7bb570908464
	.section	.bss,"aw",@nobits
	.globl	__hip_cuid_931a7bb570908464
__hip_cuid_931a7bb570908464:
	.byte	0                               ; 0x0
	.size	__hip_cuid_931a7bb570908464, 1

	.ident	"AMD clang version 19.0.0git (https://github.com/RadeonOpenCompute/llvm-project roc-6.4.0 25133 c7fe45cf4b819c5991fe208aaa96edf142730f1d)"
	.section	".note.GNU-stack","",@progbits
	.addrsig
	.addrsig_sym __hip_cuid_931a7bb570908464
	.amdgpu_metadata
---
amdhsa.kernels:
  - .args:
      - .actual_access:  read_only
        .address_space:  global
        .offset:         0
        .size:           8
        .value_kind:     global_buffer
      - .offset:         8
        .size:           8
        .value_kind:     by_value
      - .actual_access:  read_only
        .address_space:  global
        .offset:         16
        .size:           8
        .value_kind:     global_buffer
      - .actual_access:  read_only
        .address_space:  global
        .offset:         24
        .size:           8
        .value_kind:     global_buffer
      - .actual_access:  read_only
        .address_space:  global
        .offset:         32
        .size:           8
        .value_kind:     global_buffer
      - .offset:         40
        .size:           8
        .value_kind:     by_value
      - .actual_access:  read_only
        .address_space:  global
        .offset:         48
        .size:           8
        .value_kind:     global_buffer
      - .actual_access:  read_only
        .address_space:  global
        .offset:         56
        .size:           8
        .value_kind:     global_buffer
      - .offset:         64
        .size:           4
        .value_kind:     by_value
      - .actual_access:  read_only
        .address_space:  global
        .offset:         72
        .size:           8
        .value_kind:     global_buffer
      - .actual_access:  read_only
        .address_space:  global
        .offset:         80
        .size:           8
        .value_kind:     global_buffer
      - .actual_access:  read_only
        .address_space:  global
        .offset:         88
        .size:           8
        .value_kind:     global_buffer
      - .actual_access:  write_only
        .address_space:  global
        .offset:         96
        .size:           8
        .value_kind:     global_buffer
    .group_segment_fixed_size: 0
    .kernarg_segment_align: 8
    .kernarg_segment_size: 104
    .language:       OpenCL C
    .language_version:
      - 2
      - 0
    .max_flat_workgroup_size: 108
    .name:           fft_rtc_back_len1728_factors_3_6_6_16_wgs_108_tpt_108_halfLds_sp_op_CI_CI_sbrr_dirReg
    .private_segment_fixed_size: 0
    .sgpr_count:     36
    .sgpr_spill_count: 0
    .symbol:         fft_rtc_back_len1728_factors_3_6_6_16_wgs_108_tpt_108_halfLds_sp_op_CI_CI_sbrr_dirReg.kd
    .uniform_work_group_size: 1
    .uses_dynamic_stack: false
    .vgpr_count:     77
    .vgpr_spill_count: 0
    .wavefront_size: 64
amdhsa.target:   amdgcn-amd-amdhsa--gfx906
amdhsa.version:
  - 1
  - 2
...

	.end_amdgpu_metadata
